;; amdgpu-corpus repo=ROCm/rocFFT kind=compiled arch=gfx1201 opt=O3
	.text
	.amdgcn_target "amdgcn-amd-amdhsa--gfx1201"
	.amdhsa_code_object_version 6
	.protected	fft_rtc_back_len630_factors_3_3_5_7_2_wgs_63_tpt_63_halfLds_half_op_CI_CI_unitstride_sbrr_R2C_dirReg ; -- Begin function fft_rtc_back_len630_factors_3_3_5_7_2_wgs_63_tpt_63_halfLds_half_op_CI_CI_unitstride_sbrr_R2C_dirReg
	.globl	fft_rtc_back_len630_factors_3_3_5_7_2_wgs_63_tpt_63_halfLds_half_op_CI_CI_unitstride_sbrr_R2C_dirReg
	.p2align	8
	.type	fft_rtc_back_len630_factors_3_3_5_7_2_wgs_63_tpt_63_halfLds_half_op_CI_CI_unitstride_sbrr_R2C_dirReg,@function
fft_rtc_back_len630_factors_3_3_5_7_2_wgs_63_tpt_63_halfLds_half_op_CI_CI_unitstride_sbrr_R2C_dirReg: ; @fft_rtc_back_len630_factors_3_3_5_7_2_wgs_63_tpt_63_halfLds_half_op_CI_CI_unitstride_sbrr_R2C_dirReg
; %bb.0:
	s_clause 0x2
	s_load_b128 s[8:11], s[0:1], 0x0
	s_load_b128 s[4:7], s[0:1], 0x58
	;; [unrolled: 1-line block ×3, first 2 shown]
	v_mul_u32_u24_e32 v1, 0x411, v0
	v_dual_mov_b32 v3, 0 :: v_dual_mov_b32 v12, 0
	v_mov_b32_e32 v13, 0
	s_delay_alu instid0(VALU_DEP_3) | instskip(NEXT) | instid1(VALU_DEP_1)
	v_lshrrev_b32_e32 v1, 16, v1
	v_dual_mov_b32 v8, v3 :: v_dual_add_nc_u32 v7, ttmp9, v1
	s_wait_kmcnt 0x0
	v_cmp_lt_u64_e64 s2, s[10:11], 2
	s_delay_alu instid0(VALU_DEP_1)
	s_and_b32 vcc_lo, exec_lo, s2
	s_cbranch_vccnz .LBB0_8
; %bb.1:
	s_load_b64 s[2:3], s[0:1], 0x10
	v_mov_b32_e32 v12, 0
	v_mov_b32_e32 v13, 0
	s_delay_alu instid0(VALU_DEP_2)
	v_mov_b32_e32 v1, v12
	s_add_nc_u64 s[16:17], s[14:15], 8
	s_add_nc_u64 s[18:19], s[12:13], 8
	s_mov_b64 s[20:21], 1
	v_mov_b32_e32 v2, v13
	s_wait_kmcnt 0x0
	s_add_nc_u64 s[22:23], s[2:3], 8
	s_mov_b32 s3, 0
.LBB0_2:                                ; =>This Inner Loop Header: Depth=1
	s_load_b64 s[24:25], s[22:23], 0x0
                                        ; implicit-def: $vgpr5_vgpr6
	s_mov_b32 s2, exec_lo
	s_wait_kmcnt 0x0
	v_or_b32_e32 v4, s25, v8
	s_delay_alu instid0(VALU_DEP_1)
	v_cmpx_ne_u64_e32 0, v[3:4]
	s_wait_alu 0xfffe
	s_xor_b32 s26, exec_lo, s2
	s_cbranch_execz .LBB0_4
; %bb.3:                                ;   in Loop: Header=BB0_2 Depth=1
	s_cvt_f32_u32 s2, s24
	s_cvt_f32_u32 s27, s25
	s_sub_nc_u64 s[30:31], 0, s[24:25]
	s_wait_alu 0xfffe
	s_delay_alu instid0(SALU_CYCLE_1) | instskip(SKIP_1) | instid1(SALU_CYCLE_2)
	s_fmamk_f32 s2, s27, 0x4f800000, s2
	s_wait_alu 0xfffe
	v_s_rcp_f32 s2, s2
	s_delay_alu instid0(TRANS32_DEP_1) | instskip(SKIP_1) | instid1(SALU_CYCLE_2)
	s_mul_f32 s2, s2, 0x5f7ffffc
	s_wait_alu 0xfffe
	s_mul_f32 s27, s2, 0x2f800000
	s_wait_alu 0xfffe
	s_delay_alu instid0(SALU_CYCLE_2) | instskip(SKIP_1) | instid1(SALU_CYCLE_2)
	s_trunc_f32 s27, s27
	s_wait_alu 0xfffe
	s_fmamk_f32 s2, s27, 0xcf800000, s2
	s_cvt_u32_f32 s29, s27
	s_wait_alu 0xfffe
	s_delay_alu instid0(SALU_CYCLE_1) | instskip(SKIP_1) | instid1(SALU_CYCLE_2)
	s_cvt_u32_f32 s28, s2
	s_wait_alu 0xfffe
	s_mul_u64 s[34:35], s[30:31], s[28:29]
	s_wait_alu 0xfffe
	s_mul_hi_u32 s37, s28, s35
	s_mul_i32 s36, s28, s35
	s_mul_hi_u32 s2, s28, s34
	s_mul_i32 s33, s29, s34
	s_wait_alu 0xfffe
	s_add_nc_u64 s[36:37], s[2:3], s[36:37]
	s_mul_hi_u32 s27, s29, s34
	s_mul_hi_u32 s38, s29, s35
	s_add_co_u32 s2, s36, s33
	s_wait_alu 0xfffe
	s_add_co_ci_u32 s2, s37, s27
	s_mul_i32 s34, s29, s35
	s_add_co_ci_u32 s35, s38, 0
	s_wait_alu 0xfffe
	s_add_nc_u64 s[34:35], s[2:3], s[34:35]
	s_wait_alu 0xfffe
	v_add_co_u32 v4, s2, s28, s34
	s_delay_alu instid0(VALU_DEP_1) | instskip(SKIP_1) | instid1(VALU_DEP_1)
	s_cmp_lg_u32 s2, 0
	s_add_co_ci_u32 s29, s29, s35
	v_readfirstlane_b32 s28, v4
	s_wait_alu 0xfffe
	s_delay_alu instid0(VALU_DEP_1)
	s_mul_u64 s[30:31], s[30:31], s[28:29]
	s_wait_alu 0xfffe
	s_mul_hi_u32 s35, s28, s31
	s_mul_i32 s34, s28, s31
	s_mul_hi_u32 s2, s28, s30
	s_mul_i32 s33, s29, s30
	s_wait_alu 0xfffe
	s_add_nc_u64 s[34:35], s[2:3], s[34:35]
	s_mul_hi_u32 s27, s29, s30
	s_mul_hi_u32 s28, s29, s31
	s_wait_alu 0xfffe
	s_add_co_u32 s2, s34, s33
	s_add_co_ci_u32 s2, s35, s27
	s_mul_i32 s30, s29, s31
	s_add_co_ci_u32 s31, s28, 0
	s_wait_alu 0xfffe
	s_add_nc_u64 s[30:31], s[2:3], s[30:31]
	s_wait_alu 0xfffe
	v_add_co_u32 v6, s2, v4, s30
	s_delay_alu instid0(VALU_DEP_1) | instskip(SKIP_1) | instid1(VALU_DEP_1)
	s_cmp_lg_u32 s2, 0
	s_add_co_ci_u32 s2, s29, s31
	v_mul_hi_u32 v11, v7, v6
	s_wait_alu 0xfffe
	v_mad_co_u64_u32 v[4:5], null, v7, s2, 0
	v_mad_co_u64_u32 v[9:10], null, v8, v6, 0
	;; [unrolled: 1-line block ×3, first 2 shown]
	s_delay_alu instid0(VALU_DEP_3) | instskip(SKIP_1) | instid1(VALU_DEP_4)
	v_add_co_u32 v4, vcc_lo, v11, v4
	s_wait_alu 0xfffd
	v_add_co_ci_u32_e32 v5, vcc_lo, 0, v5, vcc_lo
	s_delay_alu instid0(VALU_DEP_2) | instskip(SKIP_1) | instid1(VALU_DEP_2)
	v_add_co_u32 v4, vcc_lo, v4, v9
	s_wait_alu 0xfffd
	v_add_co_ci_u32_e32 v4, vcc_lo, v5, v10, vcc_lo
	s_wait_alu 0xfffd
	v_add_co_ci_u32_e32 v5, vcc_lo, 0, v15, vcc_lo
	s_delay_alu instid0(VALU_DEP_2) | instskip(SKIP_1) | instid1(VALU_DEP_2)
	v_add_co_u32 v9, vcc_lo, v4, v14
	s_wait_alu 0xfffd
	v_add_co_ci_u32_e32 v6, vcc_lo, 0, v5, vcc_lo
	s_delay_alu instid0(VALU_DEP_2) | instskip(SKIP_1) | instid1(VALU_DEP_3)
	v_mul_lo_u32 v10, s25, v9
	v_mad_co_u64_u32 v[4:5], null, s24, v9, 0
	v_mul_lo_u32 v11, s24, v6
	s_delay_alu instid0(VALU_DEP_2) | instskip(NEXT) | instid1(VALU_DEP_2)
	v_sub_co_u32 v4, vcc_lo, v7, v4
	v_add3_u32 v5, v5, v11, v10
	s_delay_alu instid0(VALU_DEP_1) | instskip(SKIP_1) | instid1(VALU_DEP_1)
	v_sub_nc_u32_e32 v10, v8, v5
	s_wait_alu 0xfffd
	v_subrev_co_ci_u32_e64 v10, s2, s25, v10, vcc_lo
	v_add_co_u32 v11, s2, v9, 2
	s_wait_alu 0xf1ff
	v_add_co_ci_u32_e64 v14, s2, 0, v6, s2
	v_sub_co_u32 v15, s2, v4, s24
	v_sub_co_ci_u32_e32 v5, vcc_lo, v8, v5, vcc_lo
	s_wait_alu 0xf1ff
	v_subrev_co_ci_u32_e64 v10, s2, 0, v10, s2
	s_delay_alu instid0(VALU_DEP_3) | instskip(NEXT) | instid1(VALU_DEP_3)
	v_cmp_le_u32_e32 vcc_lo, s24, v15
	v_cmp_eq_u32_e64 s2, s25, v5
	s_wait_alu 0xfffd
	v_cndmask_b32_e64 v15, 0, -1, vcc_lo
	v_cmp_le_u32_e32 vcc_lo, s25, v10
	s_wait_alu 0xfffd
	v_cndmask_b32_e64 v16, 0, -1, vcc_lo
	v_cmp_le_u32_e32 vcc_lo, s24, v4
	;; [unrolled: 3-line block ×3, first 2 shown]
	s_wait_alu 0xfffd
	v_cndmask_b32_e64 v17, 0, -1, vcc_lo
	v_cmp_eq_u32_e32 vcc_lo, s25, v10
	s_wait_alu 0xf1ff
	s_delay_alu instid0(VALU_DEP_2)
	v_cndmask_b32_e64 v4, v17, v4, s2
	s_wait_alu 0xfffd
	v_cndmask_b32_e32 v10, v16, v15, vcc_lo
	v_add_co_u32 v15, vcc_lo, v9, 1
	s_wait_alu 0xfffd
	v_add_co_ci_u32_e32 v16, vcc_lo, 0, v6, vcc_lo
	s_delay_alu instid0(VALU_DEP_3) | instskip(SKIP_1) | instid1(VALU_DEP_2)
	v_cmp_ne_u32_e32 vcc_lo, 0, v10
	s_wait_alu 0xfffd
	v_dual_cndmask_b32 v5, v16, v14 :: v_dual_cndmask_b32 v10, v15, v11
	v_cmp_ne_u32_e32 vcc_lo, 0, v4
	s_wait_alu 0xfffd
	s_delay_alu instid0(VALU_DEP_2)
	v_dual_cndmask_b32 v6, v6, v5 :: v_dual_cndmask_b32 v5, v9, v10
.LBB0_4:                                ;   in Loop: Header=BB0_2 Depth=1
	s_wait_alu 0xfffe
	s_and_not1_saveexec_b32 s2, s26
	s_cbranch_execz .LBB0_6
; %bb.5:                                ;   in Loop: Header=BB0_2 Depth=1
	v_cvt_f32_u32_e32 v4, s24
	s_sub_co_i32 s26, 0, s24
	s_delay_alu instid0(VALU_DEP_1) | instskip(NEXT) | instid1(TRANS32_DEP_1)
	v_rcp_iflag_f32_e32 v4, v4
	v_mul_f32_e32 v4, 0x4f7ffffe, v4
	s_delay_alu instid0(VALU_DEP_1) | instskip(SKIP_1) | instid1(VALU_DEP_1)
	v_cvt_u32_f32_e32 v4, v4
	s_wait_alu 0xfffe
	v_mul_lo_u32 v5, s26, v4
	s_delay_alu instid0(VALU_DEP_1) | instskip(NEXT) | instid1(VALU_DEP_1)
	v_mul_hi_u32 v5, v4, v5
	v_add_nc_u32_e32 v4, v4, v5
	s_delay_alu instid0(VALU_DEP_1) | instskip(NEXT) | instid1(VALU_DEP_1)
	v_mul_hi_u32 v4, v7, v4
	v_mul_lo_u32 v5, v4, s24
	v_add_nc_u32_e32 v6, 1, v4
	s_delay_alu instid0(VALU_DEP_2) | instskip(NEXT) | instid1(VALU_DEP_1)
	v_sub_nc_u32_e32 v5, v7, v5
	v_subrev_nc_u32_e32 v9, s24, v5
	v_cmp_le_u32_e32 vcc_lo, s24, v5
	s_wait_alu 0xfffd
	s_delay_alu instid0(VALU_DEP_2) | instskip(NEXT) | instid1(VALU_DEP_1)
	v_dual_cndmask_b32 v5, v5, v9 :: v_dual_cndmask_b32 v4, v4, v6
	v_cmp_le_u32_e32 vcc_lo, s24, v5
	s_delay_alu instid0(VALU_DEP_2) | instskip(SKIP_1) | instid1(VALU_DEP_1)
	v_add_nc_u32_e32 v6, 1, v4
	s_wait_alu 0xfffd
	v_dual_cndmask_b32 v5, v4, v6 :: v_dual_mov_b32 v6, v3
.LBB0_6:                                ;   in Loop: Header=BB0_2 Depth=1
	s_wait_alu 0xfffe
	s_or_b32 exec_lo, exec_lo, s2
	s_delay_alu instid0(VALU_DEP_1) | instskip(NEXT) | instid1(VALU_DEP_2)
	v_mul_lo_u32 v4, v6, s24
	v_mul_lo_u32 v11, v5, s25
	s_load_b64 s[26:27], s[18:19], 0x0
	v_mad_co_u64_u32 v[9:10], null, v5, s24, 0
	s_load_b64 s[24:25], s[16:17], 0x0
	s_add_nc_u64 s[20:21], s[20:21], 1
	s_add_nc_u64 s[16:17], s[16:17], 8
	s_wait_alu 0xfffe
	v_cmp_ge_u64_e64 s2, s[20:21], s[10:11]
	s_add_nc_u64 s[18:19], s[18:19], 8
	s_add_nc_u64 s[22:23], s[22:23], 8
	v_add3_u32 v4, v10, v11, v4
	v_sub_co_u32 v7, vcc_lo, v7, v9
	s_wait_alu 0xfffd
	s_delay_alu instid0(VALU_DEP_2) | instskip(SKIP_2) | instid1(VALU_DEP_1)
	v_sub_co_ci_u32_e32 v4, vcc_lo, v8, v4, vcc_lo
	s_and_b32 vcc_lo, exec_lo, s2
	s_wait_kmcnt 0x0
	v_mul_lo_u32 v8, s26, v4
	v_mul_lo_u32 v9, s27, v7
	v_mad_co_u64_u32 v[12:13], null, s26, v7, v[12:13]
	v_mul_lo_u32 v4, s24, v4
	v_mul_lo_u32 v10, s25, v7
	v_mad_co_u64_u32 v[1:2], null, s24, v7, v[1:2]
	s_delay_alu instid0(VALU_DEP_4) | instskip(NEXT) | instid1(VALU_DEP_2)
	v_add3_u32 v13, v9, v13, v8
	v_add3_u32 v2, v10, v2, v4
	s_wait_alu 0xfffe
	s_cbranch_vccnz .LBB0_9
; %bb.7:                                ;   in Loop: Header=BB0_2 Depth=1
	v_dual_mov_b32 v8, v6 :: v_dual_mov_b32 v7, v5
	s_branch .LBB0_2
.LBB0_8:
	v_dual_mov_b32 v1, v12 :: v_dual_mov_b32 v2, v13
	v_dual_mov_b32 v5, v7 :: v_dual_mov_b32 v6, v8
.LBB0_9:
	s_load_b64 s[0:1], s[0:1], 0x28
	v_mul_hi_u32 v4, 0x4104105, v0
	s_lshl_b64 s[10:11], s[10:11], 3
                                        ; implicit-def: $vgpr3
                                        ; implicit-def: $vgpr7
                                        ; implicit-def: $vgpr11
                                        ; implicit-def: $vgpr9
	s_wait_kmcnt 0x0
	v_cmp_gt_u64_e32 vcc_lo, s[0:1], v[5:6]
	v_cmp_le_u64_e64 s0, s[0:1], v[5:6]
	s_delay_alu instid0(VALU_DEP_1)
	s_and_saveexec_b32 s1, s0
	s_wait_alu 0xfffe
	s_xor_b32 s0, exec_lo, s1
; %bb.10:
	v_mul_u32_u24_e32 v3, 63, v4
                                        ; implicit-def: $vgpr4
                                        ; implicit-def: $vgpr12_vgpr13
	s_delay_alu instid0(VALU_DEP_1) | instskip(NEXT) | instid1(VALU_DEP_1)
	v_sub_nc_u32_e32 v3, v0, v3
                                        ; implicit-def: $vgpr0
	v_add_nc_u32_e32 v7, 63, v3
	v_add_nc_u32_e32 v11, 0x7e, v3
	;; [unrolled: 1-line block ×3, first 2 shown]
; %bb.11:
	s_wait_alu 0xfffe
	s_or_saveexec_b32 s1, s0
	s_add_nc_u64 s[2:3], s[14:15], s[10:11]
	s_wait_alu 0xfffe
	s_xor_b32 exec_lo, exec_lo, s1
	s_cbranch_execz .LBB0_13
; %bb.12:
	s_add_nc_u64 s[10:11], s[12:13], s[10:11]
	s_load_b64 s[10:11], s[10:11], 0x0
	s_wait_kmcnt 0x0
	v_mul_lo_u32 v3, s11, v5
	v_mul_lo_u32 v9, s10, v6
	v_mad_co_u64_u32 v[7:8], null, s10, v5, 0
	s_delay_alu instid0(VALU_DEP_1) | instskip(SKIP_2) | instid1(VALU_DEP_3)
	v_add3_u32 v8, v8, v9, v3
	v_mul_u32_u24_e32 v3, 63, v4
	v_lshlrev_b64_e32 v[9:10], 2, v[12:13]
	v_lshlrev_b64_e32 v[7:8], 2, v[7:8]
	s_delay_alu instid0(VALU_DEP_3) | instskip(NEXT) | instid1(VALU_DEP_1)
	v_sub_nc_u32_e32 v3, v0, v3
	v_lshlrev_b32_e32 v11, 2, v3
	s_delay_alu instid0(VALU_DEP_3) | instskip(SKIP_1) | instid1(VALU_DEP_4)
	v_add_co_u32 v0, s0, s4, v7
	s_wait_alu 0xf1ff
	v_add_co_ci_u32_e64 v4, s0, s5, v8, s0
	s_delay_alu instid0(VALU_DEP_3) | instskip(NEXT) | instid1(VALU_DEP_3)
	v_add_nc_u32_e32 v18, 0, v11
	v_add_co_u32 v0, s0, v0, v9
	s_wait_alu 0xf1ff
	s_delay_alu instid0(VALU_DEP_3) | instskip(SKIP_1) | instid1(VALU_DEP_3)
	v_add_co_ci_u32_e64 v4, s0, v4, v10, s0
	v_add_nc_u32_e32 v9, 0xbd, v3
	v_add_co_u32 v7, s0, v0, v11
	s_wait_alu 0xf1ff
	s_delay_alu instid0(VALU_DEP_3)
	v_add_co_ci_u32_e64 v8, s0, 0, v4, s0
	s_clause 0x9
	global_load_b32 v0, v[7:8], off
	global_load_b32 v4, v[7:8], off offset:252
	global_load_b32 v10, v[7:8], off offset:504
	;; [unrolled: 1-line block ×9, first 2 shown]
	v_add_nc_u32_e32 v7, 63, v3
	v_add_nc_u32_e32 v11, 0x7e, v3
	;; [unrolled: 1-line block ×5, first 2 shown]
	s_wait_loadcnt 0x8
	ds_store_2addr_b32 v18, v0, v4 offset1:63
	s_wait_loadcnt 0x6
	ds_store_2addr_b32 v18, v10, v12 offset0:126 offset1:189
	s_wait_loadcnt 0x4
	ds_store_2addr_b32 v19, v13, v14 offset0:124 offset1:187
	;; [unrolled: 2-line block ×4, first 2 shown]
.LBB0_13:
	s_or_b32 exec_lo, exec_lo, s1
	v_lshl_add_u32 v0, v3, 2, 0
	s_load_b64 s[2:3], s[2:3], 0x0
	global_wb scope:SCOPE_SE
	s_wait_dscnt 0x0
	s_wait_kmcnt 0x0
	s_barrier_signal -1
	s_barrier_wait -1
	v_add_nc_u32_e32 v4, 0x400, v0
	v_add_nc_u32_e32 v8, 0x800, v0
	;; [unrolled: 1-line block ×3, first 2 shown]
	global_inv scope:SCOPE_SE
	ds_load_2addr_b32 v[14:15], v0 offset0:126 offset1:189
	ds_load_2addr_b32 v[16:17], v4 offset0:80 offset1:143
	;; [unrolled: 1-line block ×3, first 2 shown]
	ds_load_2addr_b32 v[23:24], v0 offset1:63
	ds_load_2addr_b32 v[12:13], v10 offset0:82 offset1:145
	ds_load_2addr_b32 v[25:26], v4 offset0:164 offset1:227
	v_lshl_add_u32 v10, v3, 3, v0
	v_mad_i32_i24 v21, v7, 12, 0
	v_mad_i32_i24 v20, v11, 12, 0
	global_wb scope:SCOPE_SE
	s_wait_dscnt 0x0
	s_barrier_signal -1
	s_barrier_wait -1
	global_inv scope:SCOPE_SE
	v_cmp_gt_u32_e64 s0, 21, v3
	v_pk_add_f16 v22, v17, v19
	v_pk_add_f16 v33, v16, v18
	;; [unrolled: 1-line block ×3, first 2 shown]
	v_pk_add_f16 v17, v17, v19 neg_lo:[0,1] neg_hi:[0,1]
	v_pk_add_f16 v29, v23, v12
	v_pk_add_f16 v30, v12, v25
	v_pk_add_f16 v12, v12, v25 neg_lo:[0,1] neg_hi:[0,1]
	v_pk_add_f16 v27, v14, v16
	v_pk_add_f16 v28, v24, v13
	;; [unrolled: 1-line block ×3, first 2 shown]
	v_pk_add_f16 v32, v13, v26 neg_lo:[0,1] neg_hi:[0,1]
	v_pk_fma_f16 v13, v22, 0.5, v15 op_sel_hi:[1,0,1] neg_lo:[1,0,0] neg_hi:[1,0,0]
	v_pk_mul_f16 v15, 0x3aee, v17 op_sel_hi:[0,1]
	v_pk_add_f16 v22, v8, v19
	v_pk_fma_f16 v19, v30, 0.5, v23 op_sel_hi:[1,0,1] neg_lo:[1,0,0] neg_hi:[1,0,0]
	v_pk_mul_f16 v23, 0x3aee, v12 op_sel_hi:[0,1]
	v_pk_add_f16 v16, v16, v18 neg_lo:[0,1] neg_hi:[0,1]
	v_pk_add_f16 v17, v27, v18
	v_pk_add_f16 v27, v15, v13 op_sel:[1,0] op_sel_hi:[0,1]
	v_pk_add_f16 v12, v13, v15 op_sel:[0,1] op_sel_hi:[1,0] neg_lo:[0,1] neg_hi:[0,1]
	v_pk_add_f16 v15, v28, v26
	v_pk_add_f16 v26, v19, v23 op_sel:[0,1] op_sel_hi:[1,0] neg_lo:[0,1] neg_hi:[0,1]
	v_pk_add_f16 v18, v19, v23 op_sel:[0,1] op_sel_hi:[1,0]
	v_pk_fma_f16 v19, v31, 0.5, v24 op_sel_hi:[1,0,1] neg_lo:[1,0,0] neg_hi:[1,0,0]
	v_pk_mul_f16 v23, 0x3aee, v32 op_sel_hi:[0,1]
	v_pk_fma_f16 v14, v33, 0.5, v14 op_sel_hi:[1,0,1] neg_lo:[1,0,0] neg_hi:[1,0,0]
	v_pk_mul_f16 v16, 0x3aee, v16 op_sel_hi:[0,1]
	v_pk_add_f16 v25, v29, v25
	v_bfi_b32 v24, 0xffff, v26, v18
	v_bfi_b32 v18, 0xffff, v18, v26
	v_pk_add_f16 v26, v19, v23 op_sel:[0,1] op_sel_hi:[1,0] neg_lo:[0,1] neg_hi:[0,1]
	v_pk_add_f16 v19, v19, v23 op_sel:[0,1] op_sel_hi:[1,0]
	v_pk_add_f16 v23, v14, v16 op_sel:[0,1] op_sel_hi:[1,0] neg_lo:[0,1] neg_hi:[0,1]
	v_pk_add_f16 v14, v14, v16 op_sel:[0,1] op_sel_hi:[1,0]
	v_lshrrev_b32_e32 v8, 16, v27
	v_bfi_b32 v13, 0xffff, v27, v12
	ds_store_2addr_b32 v10, v25, v24 offset1:1
	ds_store_b32 v10, v18 offset:8
	v_bfi_b32 v10, 0xffff, v26, v19
	v_bfi_b32 v16, 0xffff, v19, v26
	v_bfi_b32 v18, 0xffff, v23, v14
	v_bfi_b32 v14, 0xffff, v14, v23
	ds_store_2addr_b32 v21, v15, v10 offset1:1
	ds_store_b32 v21, v16 offset:8
	ds_store_2addr_b32 v20, v17, v18 offset1:1
	ds_store_b32 v20, v14 offset:8
	s_and_saveexec_b32 s1, s0
	s_cbranch_execz .LBB0_15
; %bb.14:
	v_mad_i32_i24 v10, v9, 12, 0
	v_perm_b32 v14, v8, v12, 0x5040100
	ds_store_2addr_b32 v10, v22, v14 offset1:1
	ds_store_b32 v10, v13 offset:8
.LBB0_15:
	s_wait_alu 0xfffe
	s_or_b32 exec_lo, exec_lo, s1
	v_lshlrev_b32_e32 v27, 3, v11
	v_lshlrev_b32_e32 v28, 3, v7
	global_wb scope:SCOPE_SE
	s_wait_dscnt 0x0
	s_barrier_signal -1
	s_barrier_wait -1
	v_sub_nc_u32_e32 v10, v20, v27
	v_sub_nc_u32_e32 v23, v21, v28
	global_inv scope:SCOPE_SE
	ds_load_2addr_b32 v[14:15], v0 offset1:210
	ds_load_2addr_b32 v[18:19], v4 offset0:164 offset1:227
	ds_load_2addr_b32 v[16:17], v4 offset0:17 offset1:80
	ds_load_b32 v24, v10
	ds_load_b32 v25, v23
	ds_load_b32 v10, v0 offset:2184
	v_lshl_add_u32 v26, v9, 2, 0
	s_and_saveexec_b32 s1, s0
	s_cbranch_execz .LBB0_17
; %bb.16:
	v_add_nc_u32_e32 v4, 0x600, v0
	ds_load_2addr_b32 v[12:13], v4 offset0:15 offset1:225
	ds_load_b32 v22, v26
	s_wait_dscnt 0x1
	v_lshrrev_b32_e32 v8, 16, v12
.LBB0_17:
	s_wait_alu 0xfffe
	s_or_b32 exec_lo, exec_lo, s1
	v_and_b32_e32 v23, 0xff, v3
	v_and_b32_e32 v4, 0xff, v7
	;; [unrolled: 1-line block ×4, first 2 shown]
	s_wait_dscnt 0x5
	v_lshrrev_b32_e32 v48, 16, v15
	v_mul_lo_u16 v30, 0xab, v23
	v_mul_lo_u16 v32, 0xab, v4
	;; [unrolled: 1-line block ×3, first 2 shown]
	s_wait_dscnt 0x4
	v_lshrrev_b32_e32 v49, 16, v18
	s_wait_dscnt 0x3
	v_lshrrev_b32_e32 v50, 16, v16
	v_lshrrev_b16 v33, 9, v30
	v_mul_lo_u16 v30, 0xab, v31
	v_lshrrev_b16 v31, 9, v32
	v_lshrrev_b16 v32, 9, v29
	v_lshrrev_b32_e32 v51, 16, v19
	v_mul_lo_u16 v34, v33, 3
	v_lshrrev_b16 v29, 9, v30
	v_mul_lo_u16 v30, v31, 3
	v_mul_lo_u16 v35, v32, 3
	v_and_b32_e32 v33, 0xffff, v33
	v_sub_nc_u16 v34, v3, v34
	v_mul_lo_u16 v36, v29, 3
	v_sub_nc_u16 v30, v7, v30
	v_sub_nc_u16 v35, v11, v35
	v_and_b32_e32 v32, 0xffff, v32
	v_and_b32_e32 v42, 0xff, v34
	v_sub_nc_u16 v34, v9, v36
	v_and_b32_e32 v43, 0xff, v30
	v_and_b32_e32 v44, 0xff, v35
	;; [unrolled: 1-line block ×3, first 2 shown]
	v_lshlrev_b32_e32 v35, 3, v42
	v_and_b32_e32 v30, 0xff, v34
	v_lshlrev_b32_e32 v36, 3, v43
	v_lshlrev_b32_e32 v38, 3, v44
	v_mul_u32_u24_e32 v33, 36, v33
	global_load_b64 v[34:35], v35, s[8:9]
	v_lshlrev_b32_e32 v40, 3, v30
	v_mul_u32_u24_e32 v32, 36, v32
	s_clause 0x2
	global_load_b64 v[36:37], v36, s[8:9]
	global_load_b64 v[38:39], v38, s[8:9]
	;; [unrolled: 1-line block ×3, first 2 shown]
	v_lshlrev_b32_e32 v42, 2, v42
	v_lshlrev_b32_e32 v44, 2, v44
	v_mul_u32_u24_e32 v54, 36, v54
	v_lshlrev_b32_e32 v43, 2, v43
	v_lshrrev_b32_e32 v52, 16, v17
	v_add3_u32 v42, 0, v33, v42
	v_add3_u32 v44, 0, v32, v44
	s_wait_dscnt 0x0
	v_lshrrev_b32_e32 v53, 16, v10
	v_add3_u32 v43, 0, v54, v43
	v_lshrrev_b32_e32 v55, 16, v13
	v_lshrrev_b32_e32 v45, 16, v14
	;; [unrolled: 1-line block ×5, first 2 shown]
	v_sub_nc_u32_e32 v28, 0, v28
	v_sub_nc_u32_e32 v27, 0, v27
	global_wb scope:SCOPE_SE
	s_wait_loadcnt 0x0
	s_barrier_signal -1
	s_barrier_wait -1
	global_inv scope:SCOPE_SE
	v_lshrrev_b32_e32 v32, 16, v34
	v_lshrrev_b32_e32 v33, 16, v35
	;; [unrolled: 1-line block ×8, first 2 shown]
	v_mul_f16_e32 v61, v32, v48
	v_mul_f16_e32 v62, v32, v15
	;; [unrolled: 1-line block ×16, first 2 shown]
	v_fmac_f16_e32 v61, v34, v15
	v_fma_f16 v34, v34, v48, -v62
	v_fmac_f16_e32 v63, v35, v18
	v_fma_f16 v18, v35, v49, -v64
	;; [unrolled: 2-line block ×8, first 2 shown]
	v_add_f16_e32 v12, v61, v63
	v_sub_f16_e32 v36, v34, v18
	v_add_f16_e32 v13, v45, v34
	v_add_f16_e32 v34, v34, v18
	v_add_f16_e32 v39, v65, v66
	v_sub_f16_e32 v40, v35, v19
	v_add_f16_e32 v41, v46, v35
	v_add_f16_e32 v35, v35, v19
	;; [unrolled: 4-line block ×4, first 2 shown]
	v_fmac_f16_e32 v14, -0.5, v12
	v_fmac_f16_e32 v45, -0.5, v34
	v_add_f16_e32 v38, v25, v65
	v_sub_f16_e32 v48, v65, v66
	v_add_f16_e32 v49, v24, v67
	v_fmac_f16_e32 v25, -0.5, v39
	v_fmac_f16_e32 v46, -0.5, v35
	v_sub_f16_e32 v53, v67, v68
	v_fmac_f16_e32 v24, -0.5, v50
	v_fmac_f16_e32 v47, -0.5, v17
	v_sub_f16_e32 v55, v16, v15
	v_sub_f16_e32 v57, v33, v32
	v_add_f16_e32 v58, v8, v63
	v_add_f16_e32 v18, v13, v18
	v_fma_f16 v13, -0.5, v54, v22
	v_fma_f16 v8, -0.5, v56, v31
	v_fmamk_f16 v17, v36, 0xbaee, v14
	v_fmac_f16_e32 v14, 0x3aee, v36
	v_fmamk_f16 v36, v37, 0x3aee, v45
	v_fmac_f16_e32 v45, 0xbaee, v37
	v_add_f16_e32 v34, v38, v66
	v_add_f16_e32 v19, v41, v19
	v_add_f16_e32 v35, v49, v68
	v_add_f16_e32 v38, v52, v10
	v_fmamk_f16 v37, v40, 0xbaee, v25
	v_fmamk_f16 v39, v48, 0x3aee, v46
	v_fmac_f16_e32 v25, 0x3aee, v40
	v_fmac_f16_e32 v46, 0xbaee, v48
	v_fmamk_f16 v40, v51, 0xbaee, v24
	v_fmamk_f16 v41, v53, 0x3aee, v47
	v_fmac_f16_e32 v24, 0x3aee, v51
	v_fmac_f16_e32 v47, 0xbaee, v53
	v_fmamk_f16 v12, v55, 0xbaee, v13
	v_fmac_f16_e32 v13, 0x3aee, v55
	v_fmamk_f16 v10, v57, 0x3aee, v8
	v_fmac_f16_e32 v8, 0xbaee, v57
	v_pack_b32_f16 v18, v58, v18
	v_pack_b32_f16 v17, v17, v36
	;; [unrolled: 1-line block ×9, first 2 shown]
	ds_store_2addr_b32 v42, v18, v17 offset1:3
	ds_store_b32 v42, v14 offset:24
	ds_store_2addr_b32 v43, v19, v35 offset1:3
	ds_store_b32 v43, v25 offset:24
	;; [unrolled: 2-line block ×3, first 2 shown]
	s_and_saveexec_b32 s1, s0
	s_cbranch_execz .LBB0_19
; %bb.18:
	v_add_f16_e32 v14, v31, v16
	v_and_b32_e32 v16, 0xffff, v29
	v_add_f16_e32 v17, v22, v33
	v_lshlrev_b32_e32 v18, 2, v30
	s_delay_alu instid0(VALU_DEP_4) | instskip(NEXT) | instid1(VALU_DEP_4)
	v_add_f16_e32 v14, v14, v15
	v_mul_u32_u24_e32 v15, 36, v16
	s_delay_alu instid0(VALU_DEP_4) | instskip(SKIP_1) | instid1(VALU_DEP_3)
	v_add_f16_e32 v16, v17, v32
	v_perm_b32 v17, v10, v12, 0x5040100
	v_add3_u32 v15, 0, v15, v18
	s_delay_alu instid0(VALU_DEP_3)
	v_pack_b32_f16 v14, v16, v14
	v_perm_b32 v16, v8, v13, 0x5040100
	ds_store_2addr_b32 v15, v14, v17 offset1:3
	ds_store_b32 v15, v16 offset:24
.LBB0_19:
	s_wait_alu 0xfffe
	s_or_b32 exec_lo, exec_lo, s1
	v_mul_lo_u16 v14, v23, 57
	v_mul_lo_u16 v15, v4, 57
	global_wb scope:SCOPE_SE
	s_wait_dscnt 0x0
	s_barrier_signal -1
	s_barrier_wait -1
	v_lshrrev_b16 v29, 9, v14
	v_lshrrev_b16 v15, 9, v15
	global_inv scope:SCOPE_SE
	v_add_nc_u32_e32 v28, v21, v28
	v_add_nc_u32_e32 v40, 0x200, v0
	v_mul_lo_u16 v14, v29, 9
	v_mul_lo_u16 v16, v15, 9
	v_add_nc_u32_e32 v21, 0x600, v0
	v_add_nc_u32_e32 v27, v20, v27
	v_and_b32_e32 v29, 0xffff, v29
	v_sub_nc_u16 v14, v3, v14
	v_sub_nc_u16 v16, v7, v16
	v_and_b32_e32 v15, 0xffff, v15
	v_cmp_gt_u32_e64 s0, 27, v3
	v_mul_u32_u24_e32 v41, 0xb4, v29
	v_and_b32_e32 v38, 0xff, v14
	v_and_b32_e32 v39, 0xff, v16
	v_mul_u32_u24_e32 v15, 0xb4, v15
	s_delay_alu instid0(VALU_DEP_3) | instskip(NEXT) | instid1(VALU_DEP_3)
	v_lshlrev_b32_e32 v14, 4, v38
	v_lshlrev_b32_e32 v16, 4, v39
	;; [unrolled: 1-line block ×4, first 2 shown]
	s_clause 0x1
	global_load_b128 v[22:25], v14, s[8:9] offset:24
	global_load_b128 v[30:33], v16, s[8:9] offset:24
	v_add_nc_u32_e32 v16, 0x400, v0
	ds_load_2addr_b32 v[17:18], v0 offset1:189
	ds_load_b32 v14, v28
	ds_load_2addr_b32 v[19:20], v40 offset0:124 offset1:187
	ds_load_2addr_b32 v[34:35], v16 offset0:122 offset1:185
	;; [unrolled: 1-line block ×3, first 2 shown]
	ds_load_b32 v21, v27
	v_add3_u32 v38, 0, v41, v38
	v_add3_u32 v39, 0, v15, v39
	global_wb scope:SCOPE_SE
	s_wait_loadcnt_dscnt 0x0
	s_barrier_signal -1
	s_barrier_wait -1
	global_inv scope:SCOPE_SE
	v_lshrrev_b32_e32 v29, 16, v14
	v_lshrrev_b32_e32 v48, 16, v19
	;; [unrolled: 1-line block ×18, first 2 shown]
	v_mul_f16_e32 v57, v15, v47
	v_mul_f16_e32 v15, v15, v21
	;; [unrolled: 1-line block ×16, first 2 shown]
	v_fmac_f16_e32 v57, v22, v21
	v_fma_f16 v15, v22, v47, -v15
	v_fmac_f16_e32 v58, v23, v19
	v_fma_f16 v19, v23, v48, -v41
	;; [unrolled: 2-line block ×8, first 2 shown]
	v_add_f16_e32 v25, v17, v57
	v_add_f16_e32 v30, v58, v59
	;; [unrolled: 1-line block ×3, first 2 shown]
	v_sub_f16_e32 v36, v58, v57
	v_sub_f16_e32 v37, v59, v60
	v_add_f16_e32 v41, v42, v15
	v_add_f16_e32 v43, v19, v21
	;; [unrolled: 1-line block ×3, first 2 shown]
	v_sub_f16_e32 v33, v15, v22
	v_sub_f16_e32 v31, v57, v58
	;; [unrolled: 1-line block ×6, first 2 shown]
	v_add_f16_e32 v51, v62, v63
	v_add_f16_e32 v66, v29, v18
	;; [unrolled: 1-line block ×6, first 2 shown]
	v_sub_f16_e32 v34, v19, v21
	v_sub_f16_e32 v44, v57, v60
	;; [unrolled: 1-line block ×3, first 2 shown]
	v_add_f16_e32 v25, v25, v58
	v_fma_f16 v58, -0.5, v30, v17
	v_fmac_f16_e32 v17, -0.5, v35
	v_add_f16_e32 v35, v36, v37
	v_add_f16_e32 v19, v41, v19
	v_fma_f16 v36, -0.5, v43, v42
	v_fmac_f16_e32 v42, -0.5, v48
	v_sub_f16_e32 v52, v18, v24
	v_sub_f16_e32 v53, v20, v23
	;; [unrolled: 1-line block ×8, first 2 shown]
	v_add_f16_e32 v73, v31, v32
	v_add_f16_e32 v41, v15, v49
	v_fma_f16 v15, -0.5, v51, v14
	v_add_f16_e32 v20, v66, v20
	v_fma_f16 v32, -0.5, v67, v29
	v_sub_f16_e32 v68, v62, v63
	v_add_f16_e32 v30, v50, v62
	v_fmac_f16_e32 v14, -0.5, v56
	v_fmac_f16_e32 v29, -0.5, v71
	v_sub_f16_e32 v47, v22, v21
	v_fmamk_f16 v48, v33, 0xbb9c, v58
	v_add_f16_e32 v19, v19, v21
	v_fmamk_f16 v21, v44, 0x3b9c, v36
	v_fmamk_f16 v49, v34, 0x3b9c, v17
	v_fmac_f16_e32 v17, 0xbb9c, v34
	v_fmamk_f16 v50, v45, 0xbb9c, v42
	v_fmac_f16_e32 v42, 0x3b9c, v45
	v_fmac_f16_e32 v58, 0x3b9c, v33
	;; [unrolled: 1-line block ×3, first 2 shown]
	v_sub_f16_e32 v70, v24, v23
	v_sub_f16_e32 v72, v23, v24
	v_add_f16_e32 v43, v54, v55
	v_fmamk_f16 v54, v52, 0xbb9c, v15
	v_add_f16_e32 v20, v20, v23
	v_fmamk_f16 v23, v61, 0x3b9c, v32
	v_sub_f16_e32 v65, v63, v64
	v_add_f16_e32 v51, v30, v63
	v_fmamk_f16 v30, v53, 0x3b9c, v14
	v_fmac_f16_e32 v14, 0xbb9c, v53
	v_fmamk_f16 v31, v68, 0xbb9c, v29
	v_fmac_f16_e32 v29, 0x3b9c, v68
	v_add_f16_e32 v37, v46, v47
	v_add_f16_e32 v25, v25, v59
	v_fmac_f16_e32 v15, 0x3b9c, v52
	v_fmac_f16_e32 v32, 0xbb9c, v61
	;; [unrolled: 1-line block ×10, first 2 shown]
	v_add_f16_e32 v47, v69, v70
	v_fmac_f16_e32 v54, 0xb8b4, v53
	v_fmac_f16_e32 v23, 0x38b4, v68
	v_add_f16_e32 v46, v57, v65
	v_add_f16_e32 v18, v18, v72
	v_fmac_f16_e32 v30, 0xb8b4, v52
	v_fmac_f16_e32 v14, 0x38b4, v52
	;; [unrolled: 1-line block ×4, first 2 shown]
	v_add_f16_e32 v25, v25, v60
	v_add_f16_e32 v19, v19, v22
	;; [unrolled: 1-line block ×3, first 2 shown]
	v_fmac_f16_e32 v15, 0x38b4, v53
	v_add_f16_e32 v20, v20, v24
	v_fmac_f16_e32 v32, 0xb8b4, v68
	v_fmac_f16_e32 v48, 0x34f2, v73
	;; [unrolled: 1-line block ×17, first 2 shown]
	v_pack_b32_f16 v18, v25, v19
	v_pack_b32_f16 v19, v22, v20
	;; [unrolled: 1-line block ×10, first 2 shown]
	ds_store_2addr_b32 v38, v18, v20 offset1:9
	ds_store_2addr_b32 v38, v21, v17 offset0:18 offset1:27
	ds_store_b32 v38, v22 offset:144
	ds_store_2addr_b32 v39, v19, v23 offset1:9
	ds_store_2addr_b32 v39, v24, v25 offset0:18 offset1:27
	ds_store_b32 v39, v33 offset:144
	global_wb scope:SCOPE_SE
	s_wait_dscnt 0x0
	s_barrier_signal -1
	s_barrier_wait -1
	global_inv scope:SCOPE_SE
	ds_load_2addr_b32 v[20:21], v0 offset1:90
	ds_load_2addr_b32 v[24:25], v40 offset0:52 offset1:142
	ds_load_2addr_b32 v[22:23], v16 offset0:104 offset1:194
	ds_load_b32 v35, v0 offset:2160
                                        ; implicit-def: $vgpr34
                                        ; implicit-def: $vgpr19
                                        ; implicit-def: $vgpr33
	s_and_saveexec_b32 s1, s0
	s_cbranch_execz .LBB0_21
; %bb.20:
	v_add_nc_u32_e32 v8, 0x800, v0
	ds_load_b32 v30, v28
	ds_load_2addr_b32 v[12:13], v16 offset0:77 offset1:167
	ds_load_2addr_b32 v[18:19], v8 offset0:1 offset1:91
	ds_load_2addr_b32 v[14:15], v0 offset0:153 offset1:243
	ds_load_u16 v32, v0 offset:974
	s_wait_dscnt 0x4
	v_lshrrev_b32_e32 v31, 16, v30
	s_wait_dscnt 0x3
	v_lshrrev_b32_e32 v10, 16, v12
	v_lshrrev_b32_e32 v8, 16, v13
	s_wait_dscnt 0x2
	v_lshrrev_b32_e32 v33, 16, v18
	;; [unrolled: 3-line block ×3, first 2 shown]
.LBB0_21:
	s_wait_alu 0xfffe
	s_or_b32 exec_lo, exec_lo, s1
	v_subrev_nc_u32_e32 v16, 45, v3
	v_cmp_gt_u32_e64 s1, 45, v3
	s_wait_dscnt 0x2
	v_lshrrev_b32_e32 v43, 16, v24
	s_wait_dscnt 0x1
	v_lshrrev_b32_e32 v46, 16, v22
	v_lshrrev_b32_e32 v47, 16, v23
	s_wait_dscnt 0x0
	v_lshrrev_b32_e32 v48, 16, v35
	s_wait_alu 0xf1ff
	v_cndmask_b32_e64 v42, v16, v3, s1
	v_mov_b32_e32 v17, 0
	v_lshrrev_b32_e32 v44, 16, v25
	v_lshrrev_b32_e32 v49, 16, v20
	s_delay_alu instid0(VALU_DEP_4) | instskip(SKIP_1) | instid1(VALU_DEP_2)
	v_mul_i32_i24_e32 v16, 6, v42
	v_lshlrev_b32_e32 v42, 2, v42
	v_lshlrev_b64_e32 v[36:37], 2, v[16:17]
	v_lshrrev_b32_e32 v16, 16, v21
	s_delay_alu instid0(VALU_DEP_2) | instskip(SKIP_1) | instid1(VALU_DEP_3)
	v_add_co_u32 v40, s1, s8, v36
	s_wait_alu 0xf1ff
	v_add_co_ci_u32_e64 v41, s1, s9, v37, s1
	v_cmp_lt_u32_e64 s1, 44, v3
	s_clause 0x1
	global_load_b128 v[36:39], v[40:41], off offset:168
	global_load_b64 v[40:41], v[40:41], off offset:184
	global_wb scope:SCOPE_SE
	s_wait_loadcnt 0x0
	s_wait_alu 0xf1ff
	v_cndmask_b32_e64 v45, 0, 0x4ec, s1
	s_barrier_signal -1
	s_barrier_wait -1
	global_inv scope:SCOPE_SE
	v_add3_u32 v42, 0, v45, v42
	v_lshrrev_b32_e32 v45, 16, v36
	v_lshrrev_b32_e32 v50, 16, v37
	;; [unrolled: 1-line block ×6, first 2 shown]
	v_mul_f16_e32 v55, v45, v16
	v_mul_f16_e32 v45, v45, v21
	;; [unrolled: 1-line block ×12, first 2 shown]
	v_fmac_f16_e32 v55, v36, v21
	v_fma_f16 v16, v36, v16, -v45
	v_fmac_f16_e32 v56, v37, v24
	v_fma_f16 v21, v37, v43, -v50
	v_fmac_f16_e32 v58, v39, v22
	v_fmac_f16_e32 v60, v41, v35
	v_fma_f16 v22, v41, v48, -v54
	v_fmac_f16_e32 v59, v40, v23
	v_fma_f16 v23, v40, v47, -v53
	;; [unrolled: 2-line block ×3, first 2 shown]
	v_fma_f16 v25, v39, v46, -v52
	v_add_f16_e32 v35, v55, v60
	v_add_f16_e32 v36, v16, v22
	v_sub_f16_e32 v16, v16, v22
	v_add_f16_e32 v22, v56, v59
	v_add_f16_e32 v38, v21, v23
	v_sub_f16_e32 v39, v56, v59
	v_sub_f16_e32 v21, v21, v23
	v_add_f16_e32 v23, v57, v58
	v_add_f16_e32 v40, v24, v25
	v_sub_f16_e32 v41, v58, v57
	;; [unrolled: 4-line block ×3, first 2 shown]
	v_sub_f16_e32 v44, v22, v35
	v_sub_f16_e32 v45, v38, v36
	;; [unrolled: 1-line block ×6, first 2 shown]
	v_add_f16_e32 v46, v41, v39
	v_add_f16_e32 v47, v24, v21
	v_sub_f16_e32 v48, v41, v39
	v_sub_f16_e32 v50, v24, v21
	;; [unrolled: 1-line block ×3, first 2 shown]
	v_add_f16_e32 v23, v23, v25
	v_add_f16_e32 v25, v40, v43
	v_sub_f16_e32 v39, v39, v37
	v_sub_f16_e32 v41, v37, v41
	v_sub_f16_e32 v24, v16, v24
	v_add_f16_e32 v37, v46, v37
	v_add_f16_e32 v16, v47, v16
	v_mul_f16_e32 v35, 0x3a52, v35
	v_mul_f16_e32 v36, 0x3a52, v36
	;; [unrolled: 1-line block ×7, first 2 shown]
	v_add_f16_e32 v20, v23, v20
	v_add_f16_e32 v49, v25, v49
	v_mul_f16_e32 v48, 0xbb00, v39
	v_fmamk_f16 v22, v22, 0x2b26, v35
	v_fmamk_f16 v38, v38, 0x2b26, v36
	v_fma_f16 v40, v44, 0x39e0, -v40
	v_fma_f16 v43, v45, 0x39e0, -v43
	;; [unrolled: 1-line block ×4, first 2 shown]
	v_fmamk_f16 v44, v41, 0xb574, v46
	v_fmamk_f16 v45, v24, 0xb574, v47
	v_fma_f16 v21, v21, 0xbb00, -v47
	v_fma_f16 v24, v24, 0x3574, -v50
	v_fmamk_f16 v23, v23, 0xbcab, v20
	v_fmamk_f16 v25, v25, 0xbcab, v49
	v_fma_f16 v39, v39, 0xbb00, -v46
	v_fma_f16 v41, v41, 0x3574, -v48
	v_fmac_f16_e32 v44, 0xb70e, v37
	v_fmac_f16_e32 v45, 0xb70e, v16
	;; [unrolled: 1-line block ×4, first 2 shown]
	v_pack_b32_f16 v16, v20, v49
	v_add_f16_e32 v20, v22, v23
	v_add_f16_e32 v22, v38, v25
	v_fmac_f16_e32 v39, 0xb70e, v37
	v_fmac_f16_e32 v41, 0xb70e, v37
	v_add_f16_e32 v37, v40, v23
	v_add_f16_e32 v23, v35, v23
	;; [unrolled: 1-line block ×5, first 2 shown]
	v_sub_f16_e32 v38, v22, v44
	v_add_f16_e32 v40, v24, v23
	v_sub_f16_e32 v43, v35, v41
	v_sub_f16_e32 v46, v37, v21
	v_add_f16_e32 v47, v39, v25
	v_add_f16_e32 v21, v21, v37
	v_sub_f16_e32 v25, v25, v39
	v_sub_f16_e32 v23, v23, v24
	v_add_f16_e32 v24, v41, v35
	v_sub_f16_e32 v20, v20, v45
	v_add_f16_e32 v22, v44, v22
	v_pack_b32_f16 v35, v36, v38
	v_pack_b32_f16 v36, v40, v43
	v_pack_b32_f16 v37, v46, v47
	v_pack_b32_f16 v21, v21, v25
	v_pack_b32_f16 v23, v23, v24
	v_pack_b32_f16 v20, v20, v22
	ds_store_2addr_b32 v42, v16, v35 offset1:45
	ds_store_2addr_b32 v42, v36, v37 offset0:90 offset1:135
	ds_store_2addr_b32 v42, v21, v23 offset0:180 offset1:225
	ds_store_b32 v42, v20 offset:1080
	s_and_saveexec_b32 s1, s0
	s_cbranch_execz .LBB0_23
; %bb.22:
	v_mul_lo_u16 v4, 0x6d, v4
	s_delay_alu instid0(VALU_DEP_1) | instskip(NEXT) | instid1(VALU_DEP_1)
	v_lshrrev_b16 v4, 8, v4
	v_sub_nc_u16 v16, v7, v4
	s_delay_alu instid0(VALU_DEP_1) | instskip(NEXT) | instid1(VALU_DEP_1)
	v_lshrrev_b16 v16, 1, v16
	v_and_b32_e32 v16, 0x7f, v16
	s_delay_alu instid0(VALU_DEP_1) | instskip(NEXT) | instid1(VALU_DEP_1)
	v_add_nc_u16 v4, v16, v4
	v_lshrrev_b16 v4, 5, v4
	s_delay_alu instid0(VALU_DEP_1) | instskip(NEXT) | instid1(VALU_DEP_1)
	v_mul_lo_u16 v4, v4, 45
	v_sub_nc_u16 v4, v7, v4
	s_delay_alu instid0(VALU_DEP_1) | instskip(NEXT) | instid1(VALU_DEP_1)
	v_and_b32_e32 v4, 0xff, v4
	v_mul_u32_u24_e32 v16, 6, v4
	v_lshl_add_u32 v4, v4, 2, 0
	s_delay_alu instid0(VALU_DEP_2) | instskip(NEXT) | instid1(VALU_DEP_2)
	v_lshlrev_b32_e32 v16, 2, v16
	v_add_nc_u32_e32 v35, 0x600, v4
	s_clause 0x1
	global_load_b128 v[20:23], v16, s[8:9] offset:168
	global_load_b64 v[24:25], v16, s[8:9] offset:184
	v_add_nc_u32_e32 v16, 0x400, v4
	s_wait_loadcnt 0x1
	v_lshrrev_b32_e32 v36, 16, v20
	v_lshrrev_b32_e32 v37, 16, v21
	s_wait_loadcnt 0x0
	v_lshrrev_b32_e32 v38, 16, v25
	v_lshrrev_b32_e32 v39, 16, v23
	;; [unrolled: 1-line block ×4, first 2 shown]
	v_mul_f16_e32 v42, v29, v36
	v_mul_f16_e32 v43, v34, v38
	;; [unrolled: 1-line block ×12, first 2 shown]
	v_fmac_f16_e32 v42, v14, v20
	v_fmac_f16_e32 v43, v19, v25
	;; [unrolled: 1-line block ×6, first 2 shown]
	v_fma_f16 v12, v34, v25, -v38
	v_fma_f16 v13, v29, v20, -v36
	v_fma_f16 v14, v33, v24, -v41
	v_fma_f16 v15, v32, v21, -v37
	v_fma_f16 v10, v10, v22, -v40
	v_fma_f16 v8, v8, v23, -v39
	v_add_f16_e32 v21, v13, v12
	v_add_f16_e32 v24, v42, v43
	;; [unrolled: 1-line block ×4, first 2 shown]
	v_sub_f16_e32 v18, v42, v43
	v_sub_f16_e32 v19, v44, v45
	;; [unrolled: 1-line block ×3, first 2 shown]
	v_add_f16_e32 v22, v10, v8
	v_add_f16_e32 v25, v45, v44
	v_sub_f16_e32 v12, v13, v12
	v_sub_f16_e32 v8, v8, v10
	;; [unrolled: 1-line block ×3, first 2 shown]
	v_add_f16_e32 v33, v23, v21
	v_add_f16_e32 v37, v29, v24
	v_sub_f16_e32 v13, v18, v19
	v_sub_f16_e32 v14, v19, v20
	v_add_f16_e32 v15, v19, v20
	v_sub_f16_e32 v19, v21, v22
	v_sub_f16_e32 v32, v22, v23
	;; [unrolled: 1-line block ×6, first 2 shown]
	v_add_f16_e32 v8, v8, v10
	v_sub_f16_e32 v20, v20, v18
	v_add_f16_e32 v22, v22, v33
	v_add_f16_e32 v25, v25, v37
	v_sub_f16_e32 v10, v10, v12
	v_sub_f16_e32 v21, v23, v21
	;; [unrolled: 1-line block ×3, first 2 shown]
	v_mul_f16_e32 v14, 0x3846, v14
	v_add_f16_e32 v15, v15, v18
	v_mul_f16_e32 v18, 0x3a52, v19
	v_mul_f16_e32 v19, 0x2b26, v32
	v_mul_f16_e32 v24, 0x3a52, v34
	v_mul_f16_e32 v33, 0x3846, v39
	v_add_f16_e32 v8, v8, v12
	v_mul_f16_e32 v12, 0xbb00, v20
	v_add_f16_e32 v31, v31, v22
	v_add_f16_e32 v30, v30, v25
	v_mul_f16_e32 v29, 0x2b26, v36
	v_mul_f16_e32 v34, 0xbb00, v10
	v_fmamk_f16 v37, v13, 0xb574, v14
	v_fmamk_f16 v32, v32, 0x2b26, v18
	;; [unrolled: 1-line block ×4, first 2 shown]
	v_fma_f16 v12, v13, 0x3574, -v12
	v_fma_f16 v13, v21, 0xb9e0, -v18
	v_fma_f16 v19, v21, 0x39e0, -v19
	v_fma_f16 v14, v20, 0xbb00, -v14
	v_fmamk_f16 v21, v22, 0xbcab, v31
	v_fmamk_f16 v22, v25, 0xbcab, v30
	v_fma_f16 v18, v23, 0xb9e0, -v24
	v_fma_f16 v24, v38, 0x3574, -v34
	v_fma_f16 v10, v10, 0xbb00, -v33
	v_fma_f16 v20, v23, 0x39e0, -v29
	v_fmac_f16_e32 v37, 0xb70e, v15
	v_fmac_f16_e32 v39, 0xb70e, v8
	;; [unrolled: 1-line block ×4, first 2 shown]
	v_add_f16_e32 v15, v32, v21
	v_add_f16_e32 v23, v36, v22
	;; [unrolled: 1-line block ×3, first 2 shown]
	v_fmac_f16_e32 v24, 0xb70e, v8
	v_fmac_f16_e32 v10, 0xb70e, v8
	v_add_f16_e32 v18, v18, v22
	v_add_f16_e32 v19, v19, v21
	;; [unrolled: 1-line block ×5, first 2 shown]
	v_sub_f16_e32 v12, v13, v12
	v_sub_f16_e32 v13, v15, v37
	v_add_f16_e32 v15, v39, v23
	v_sub_f16_e32 v22, v23, v39
	v_sub_f16_e32 v29, v19, v14
	v_add_f16_e32 v14, v14, v19
	v_add_f16_e32 v19, v24, v18
	v_sub_f16_e32 v23, v20, v10
	v_add_f16_e32 v10, v10, v20
	v_sub_f16_e32 v18, v18, v24
	v_pack_b32_f16 v8, v30, v31
	v_pack_b32_f16 v13, v15, v13
	;; [unrolled: 1-line block ×7, first 2 shown]
	ds_store_2addr_b32 v16, v8, v13 offset0:59 offset1:104
	ds_store_2addr_b32 v16, v12, v14 offset0:149 offset1:194
	;; [unrolled: 1-line block ×3, first 2 shown]
	ds_store_b32 v4, v18 offset:2340
.LBB0_23:
	s_wait_alu 0xfffe
	s_or_b32 exec_lo, exec_lo, s1
	v_dual_mov_b32 v4, v17 :: v_dual_add_nc_u32 v19, 0x400, v0
	v_mov_b32_e32 v12, v17
	v_mov_b32_e32 v8, v17
	;; [unrolled: 1-line block ×3, first 2 shown]
	s_delay_alu instid0(VALU_DEP_4)
	v_lshlrev_b64_e32 v[13:14], 2, v[3:4]
	global_wb scope:SCOPE_SE
	s_wait_dscnt 0x0
	v_lshlrev_b64_e32 v[11:12], 2, v[11:12]
	v_lshlrev_b64_e32 v[17:18], 2, v[7:8]
	;; [unrolled: 1-line block ×3, first 2 shown]
	s_barrier_signal -1
	v_add_co_u32 v15, s0, s8, v13
	s_wait_alu 0xf1ff
	v_add_co_ci_u32_e64 v16, s0, s9, v14, s0
	v_add_co_u32 v9, s0, s8, v11
	s_wait_alu 0xf1ff
	v_add_co_ci_u32_e64 v10, s0, s9, v12, s0
	;; [unrolled: 3-line block ×4, first 2 shown]
	s_barrier_wait -1
	global_inv scope:SCOPE_SE
	s_clause 0x4
	global_load_b32 v4, v[15:16], off offset:1248
	global_load_b32 v23, v[15:16], off offset:2256
	;; [unrolled: 1-line block ×5, first 2 shown]
	ds_load_2addr_b32 v[17:18], v19 offset0:59 offset1:122
	ds_load_b32 v30, v0 offset:2268
	ds_load_2addr_b32 v[19:20], v19 offset0:185 offset1:248
	ds_load_2addr_b32 v[21:22], v0 offset1:252
	ds_load_b32 v31, v26
	ds_load_b32 v32, v28
	;; [unrolled: 1-line block ×3, first 2 shown]
	global_wb scope:SCOPE_SE
	s_wait_loadcnt_dscnt 0x0
	s_barrier_signal -1
	s_barrier_wait -1
	global_inv scope:SCOPE_SE
	v_cmp_ne_u32_e64 s0, 0, v3
	v_pk_mul_f16 v34, v4, v17 op_sel:[0,1]
	v_pk_mul_f16 v35, v23, v30 op_sel:[0,1]
	;; [unrolled: 1-line block ×5, first 2 shown]
	v_pk_fma_f16 v39, v4, v17, v34 op_sel:[0,0,1] op_sel_hi:[1,1,0]
	v_pk_fma_f16 v4, v4, v17, v34 op_sel:[0,0,1] op_sel_hi:[1,0,0] neg_lo:[1,0,0] neg_hi:[1,0,0]
	v_pk_fma_f16 v17, v23, v30, v35 op_sel:[0,0,1] op_sel_hi:[1,1,0]
	v_pk_fma_f16 v23, v23, v30, v35 op_sel:[0,0,1] op_sel_hi:[1,0,0] neg_lo:[1,0,0] neg_hi:[1,0,0]
	;; [unrolled: 2-line block ×5, first 2 shown]
	v_bfi_b32 v4, 0xffff, v39, v4
	v_bfi_b32 v17, 0xffff, v17, v23
	;; [unrolled: 1-line block ×5, first 2 shown]
	v_pk_add_f16 v4, v21, v4 neg_lo:[0,1] neg_hi:[0,1]
	v_pk_add_f16 v17, v22, v17 neg_lo:[0,1] neg_hi:[0,1]
	;; [unrolled: 1-line block ×5, first 2 shown]
	v_pk_fma_f16 v21, v21, 2.0, v4 op_sel_hi:[1,0,1] neg_lo:[0,0,1] neg_hi:[0,0,1]
	v_pk_fma_f16 v22, v22, 2.0, v17 op_sel_hi:[1,0,1] neg_lo:[0,0,1] neg_hi:[0,0,1]
	;; [unrolled: 1-line block ×5, first 2 shown]
	ds_store_b32 v0, v21
	ds_store_b32 v0, v4 offset:1260
	ds_store_b32 v28, v23
	ds_store_b32 v28, v18 offset:1260
	;; [unrolled: 2-line block ×4, first 2 shown]
	ds_store_b32 v0, v22 offset:1008
	ds_store_b32 v0, v17 offset:2268
	global_wb scope:SCOPE_SE
	s_wait_dscnt 0x0
	s_barrier_signal -1
	s_barrier_wait -1
	global_inv scope:SCOPE_SE
	ds_load_b32 v20, v0
	v_lshlrev_b32_e32 v4, 2, v3
                                        ; implicit-def: $vgpr19
                                        ; implicit-def: $vgpr18
                                        ; implicit-def: $vgpr17
	s_delay_alu instid0(VALU_DEP_1)
	v_sub_nc_u32_e32 v4, 0, v4
	s_and_saveexec_b32 s1, s0
	s_wait_alu 0xfffe
	s_xor_b32 s0, exec_lo, s1
	s_cbranch_execz .LBB0_25
; %bb.24:
	global_load_b32 v15, v[15:16], off offset:2508
	ds_load_b32 v16, v4 offset:2520
	s_wait_dscnt 0x0
	v_pk_add_f16 v17, v20, v16 neg_lo:[0,1] neg_hi:[0,1]
	v_pk_add_f16 v16, v16, v20
	s_delay_alu instid0(VALU_DEP_1) | instskip(SKIP_1) | instid1(VALU_DEP_2)
	v_bfi_b32 v18, 0xffff, v17, v16
	v_bfi_b32 v16, 0xffff, v16, v17
	v_pk_mul_f16 v18, v18, 0.5 op_sel_hi:[1,0]
	s_delay_alu instid0(VALU_DEP_2) | instskip(SKIP_1) | instid1(VALU_DEP_2)
	v_pk_mul_f16 v19, v16, 0.5 op_sel_hi:[1,0]
	s_wait_loadcnt 0x0
	v_pk_mul_f16 v17, v15, v18 op_sel:[1,0]
	v_pk_mul_f16 v15, v15, v18 op_sel_hi:[0,1]
	s_delay_alu instid0(VALU_DEP_3) | instskip(NEXT) | instid1(VALU_DEP_3)
	v_lshrrev_b32_e32 v18, 16, v19
	v_pk_fma_f16 v16, v16, 0.5, v17 op_sel_hi:[1,0,1]
	v_lshrrev_b32_e32 v20, 16, v17
	v_sub_f16_e32 v17, v19, v17
	v_lshrrev_b32_e32 v19, 16, v15
	s_delay_alu instid0(VALU_DEP_4) | instskip(SKIP_2) | instid1(VALU_DEP_4)
	v_pk_add_f16 v21, v16, v15 op_sel:[0,1] op_sel_hi:[1,0]
	v_pk_add_f16 v16, v16, v15 op_sel:[0,1] op_sel_hi:[1,0] neg_lo:[0,1] neg_hi:[0,1]
	v_sub_f16_e32 v20, v20, v18
	v_sub_f16_e32 v18, v17, v19
	s_delay_alu instid0(VALU_DEP_3) | instskip(NEXT) | instid1(VALU_DEP_3)
	v_bfi_b32 v19, 0xffff, v21, v16
	v_sub_f16_e32 v17, v20, v15
                                        ; implicit-def: $vgpr20
.LBB0_25:
	s_wait_alu 0xfffe
	s_and_not1_saveexec_b32 s0, s0
	s_cbranch_execz .LBB0_27
; %bb.26:
	v_mov_b32_e32 v17, 0
	s_wait_dscnt 0x0
	s_wait_alu 0xfffe
	v_alignbit_b32 v16, s0, v20, 16
	v_lshrrev_b32_e32 v18, 16, v20
	ds_load_u16 v15, v17 offset:1262
	v_pk_add_f16 v16, v16, v20
	v_sub_f16_e32 v18, v20, v18
	s_delay_alu instid0(VALU_DEP_2)
	v_pack_b32_f16 v19, v16, 0
	s_wait_dscnt 0x0
	v_xor_b32_e32 v15, 0x8000, v15
	ds_store_b16 v17, v15 offset:1262
.LBB0_27:
	s_wait_alu 0xfffe
	s_or_b32 exec_lo, exec_lo, s0
	s_clause 0x2
	global_load_b32 v11, v[11:12], off offset:2508
	global_load_b32 v9, v[9:10], off offset:2508
	;; [unrolled: 1-line block ×3, first 2 shown]
	s_add_nc_u64 s[0:1], s[8:9], 0x9cc
	s_wait_alu 0xfffe
	v_add_co_u32 v7, s0, s0, v13
	s_wait_alu 0xf1ff
	v_add_co_ci_u32_e64 v8, s0, s1, v14, s0
	global_load_b32 v7, v[7:8], off offset:1008
	ds_store_b16 v4, v17 offset:2522
	ds_store_b32 v0, v19
	ds_store_b16 v4, v18 offset:2520
	ds_load_b32 v8, v28
	ds_load_b32 v12, v4 offset:2268
	s_wait_dscnt 0x0
	v_pk_add_f16 v13, v8, v12 neg_lo:[0,1] neg_hi:[0,1]
	v_pk_add_f16 v8, v8, v12
	s_delay_alu instid0(VALU_DEP_1) | instskip(SKIP_1) | instid1(VALU_DEP_2)
	v_bfi_b32 v12, 0xffff, v13, v8
	v_bfi_b32 v8, 0xffff, v8, v13
	v_pk_mul_f16 v12, v12, 0.5 op_sel_hi:[1,0]
	s_delay_alu instid0(VALU_DEP_2) | instskip(SKIP_1) | instid1(VALU_DEP_1)
	v_pk_mul_f16 v8, v8, 0.5 op_sel_hi:[1,0]
	s_wait_loadcnt 0x3
	v_pk_fma_f16 v13, v11, v12, v8 op_sel:[1,0,0]
	v_pk_mul_f16 v14, v11, v12 op_sel_hi:[0,1]
	v_pk_fma_f16 v15, v11, v12, v8 op_sel:[1,0,0] neg_lo:[1,0,0] neg_hi:[1,0,0]
	v_pk_fma_f16 v8, v11, v12, v8 op_sel:[1,0,0] neg_lo:[0,0,1] neg_hi:[0,0,1]
	s_delay_alu instid0(VALU_DEP_3) | instskip(SKIP_1) | instid1(VALU_DEP_4)
	v_pk_add_f16 v11, v13, v14 op_sel:[0,1] op_sel_hi:[1,0]
	v_pk_add_f16 v12, v13, v14 op_sel:[0,1] op_sel_hi:[1,0] neg_lo:[0,1] neg_hi:[0,1]
	v_pk_add_f16 v13, v15, v14 op_sel:[0,1] op_sel_hi:[1,0] neg_lo:[0,1] neg_hi:[0,1]
	s_delay_alu instid0(VALU_DEP_4) | instskip(NEXT) | instid1(VALU_DEP_3)
	v_pk_add_f16 v8, v8, v14 op_sel:[0,1] op_sel_hi:[1,0] neg_lo:[0,1] neg_hi:[0,1]
	v_bfi_b32 v11, 0xffff, v11, v12
	s_delay_alu instid0(VALU_DEP_2)
	v_bfi_b32 v8, 0xffff, v13, v8
	ds_store_b32 v28, v11
	ds_store_b32 v4, v8 offset:2268
	ds_load_b32 v8, v27
	ds_load_b32 v11, v4 offset:2016
	s_wait_dscnt 0x0
	v_pk_add_f16 v12, v8, v11 neg_lo:[0,1] neg_hi:[0,1]
	v_pk_add_f16 v8, v8, v11
	s_delay_alu instid0(VALU_DEP_1) | instskip(SKIP_1) | instid1(VALU_DEP_2)
	v_bfi_b32 v11, 0xffff, v12, v8
	v_bfi_b32 v8, 0xffff, v8, v12
	v_pk_mul_f16 v11, v11, 0.5 op_sel_hi:[1,0]
	s_delay_alu instid0(VALU_DEP_2) | instskip(SKIP_1) | instid1(VALU_DEP_2)
	v_pk_mul_f16 v8, v8, 0.5 op_sel_hi:[1,0]
	s_wait_loadcnt 0x2
	v_pk_mul_f16 v13, v9, v11 op_sel_hi:[0,1]
	s_delay_alu instid0(VALU_DEP_2) | instskip(SKIP_2) | instid1(VALU_DEP_3)
	v_pk_fma_f16 v12, v9, v11, v8 op_sel:[1,0,0]
	v_pk_fma_f16 v14, v9, v11, v8 op_sel:[1,0,0] neg_lo:[1,0,0] neg_hi:[1,0,0]
	v_pk_fma_f16 v8, v9, v11, v8 op_sel:[1,0,0] neg_lo:[0,0,1] neg_hi:[0,0,1]
	v_pk_add_f16 v9, v12, v13 op_sel:[0,1] op_sel_hi:[1,0]
	v_pk_add_f16 v11, v12, v13 op_sel:[0,1] op_sel_hi:[1,0] neg_lo:[0,1] neg_hi:[0,1]
	s_delay_alu instid0(VALU_DEP_4) | instskip(NEXT) | instid1(VALU_DEP_4)
	v_pk_add_f16 v12, v14, v13 op_sel:[0,1] op_sel_hi:[1,0] neg_lo:[0,1] neg_hi:[0,1]
	v_pk_add_f16 v8, v8, v13 op_sel:[0,1] op_sel_hi:[1,0] neg_lo:[0,1] neg_hi:[0,1]
	s_delay_alu instid0(VALU_DEP_3) | instskip(NEXT) | instid1(VALU_DEP_2)
	v_bfi_b32 v9, 0xffff, v9, v11
	v_bfi_b32 v8, 0xffff, v12, v8
	ds_store_b32 v27, v9
	ds_store_b32 v4, v8 offset:2016
	ds_load_b32 v8, v26
	ds_load_b32 v9, v4 offset:1764
	s_wait_dscnt 0x0
	v_pk_add_f16 v11, v8, v9 neg_lo:[0,1] neg_hi:[0,1]
	v_pk_add_f16 v8, v8, v9
	s_delay_alu instid0(VALU_DEP_1) | instskip(SKIP_1) | instid1(VALU_DEP_2)
	v_bfi_b32 v9, 0xffff, v11, v8
	v_bfi_b32 v8, 0xffff, v8, v11
	v_pk_mul_f16 v9, v9, 0.5 op_sel_hi:[1,0]
	s_delay_alu instid0(VALU_DEP_2) | instskip(SKIP_1) | instid1(VALU_DEP_2)
	v_pk_mul_f16 v8, v8, 0.5 op_sel_hi:[1,0]
	s_wait_loadcnt 0x1
	v_pk_mul_f16 v12, v10, v9 op_sel_hi:[0,1]
	s_delay_alu instid0(VALU_DEP_2) | instskip(SKIP_2) | instid1(VALU_DEP_3)
	v_pk_fma_f16 v11, v10, v9, v8 op_sel:[1,0,0]
	v_pk_fma_f16 v13, v10, v9, v8 op_sel:[1,0,0] neg_lo:[1,0,0] neg_hi:[1,0,0]
	v_pk_fma_f16 v8, v10, v9, v8 op_sel:[1,0,0] neg_lo:[0,0,1] neg_hi:[0,0,1]
	v_pk_add_f16 v9, v11, v12 op_sel:[0,1] op_sel_hi:[1,0]
	v_pk_add_f16 v10, v11, v12 op_sel:[0,1] op_sel_hi:[1,0] neg_lo:[0,1] neg_hi:[0,1]
	s_delay_alu instid0(VALU_DEP_4) | instskip(NEXT) | instid1(VALU_DEP_4)
	v_pk_add_f16 v11, v13, v12 op_sel:[0,1] op_sel_hi:[1,0] neg_lo:[0,1] neg_hi:[0,1]
	v_pk_add_f16 v8, v8, v12 op_sel:[0,1] op_sel_hi:[1,0] neg_lo:[0,1] neg_hi:[0,1]
	s_delay_alu instid0(VALU_DEP_3) | instskip(NEXT) | instid1(VALU_DEP_2)
	v_bfi_b32 v9, 0xffff, v9, v10
	v_bfi_b32 v8, 0xffff, v11, v8
	ds_store_b32 v26, v9
	ds_store_b32 v4, v8 offset:1764
	ds_load_b32 v8, v0 offset:1008
	ds_load_b32 v9, v4 offset:1512
	s_wait_dscnt 0x0
	v_pk_add_f16 v10, v8, v9 neg_lo:[0,1] neg_hi:[0,1]
	v_pk_add_f16 v8, v8, v9
	s_delay_alu instid0(VALU_DEP_1) | instskip(SKIP_1) | instid1(VALU_DEP_2)
	v_bfi_b32 v9, 0xffff, v10, v8
	v_bfi_b32 v8, 0xffff, v8, v10
	v_pk_mul_f16 v9, v9, 0.5 op_sel_hi:[1,0]
	s_delay_alu instid0(VALU_DEP_2) | instskip(SKIP_1) | instid1(VALU_DEP_2)
	v_pk_mul_f16 v8, v8, 0.5 op_sel_hi:[1,0]
	s_wait_loadcnt 0x0
	v_pk_mul_f16 v11, v7, v9 op_sel_hi:[0,1]
	s_delay_alu instid0(VALU_DEP_2) | instskip(SKIP_2) | instid1(VALU_DEP_3)
	v_pk_fma_f16 v10, v7, v9, v8 op_sel:[1,0,0]
	v_pk_fma_f16 v12, v7, v9, v8 op_sel:[1,0,0] neg_lo:[1,0,0] neg_hi:[1,0,0]
	v_pk_fma_f16 v7, v7, v9, v8 op_sel:[1,0,0] neg_lo:[0,0,1] neg_hi:[0,0,1]
	v_pk_add_f16 v8, v10, v11 op_sel:[0,1] op_sel_hi:[1,0]
	v_pk_add_f16 v9, v10, v11 op_sel:[0,1] op_sel_hi:[1,0] neg_lo:[0,1] neg_hi:[0,1]
	s_delay_alu instid0(VALU_DEP_4) | instskip(NEXT) | instid1(VALU_DEP_4)
	v_pk_add_f16 v10, v12, v11 op_sel:[0,1] op_sel_hi:[1,0] neg_lo:[0,1] neg_hi:[0,1]
	v_pk_add_f16 v7, v7, v11 op_sel:[0,1] op_sel_hi:[1,0] neg_lo:[0,1] neg_hi:[0,1]
	s_delay_alu instid0(VALU_DEP_3) | instskip(NEXT) | instid1(VALU_DEP_2)
	v_bfi_b32 v8, 0xffff, v8, v9
	v_bfi_b32 v7, 0xffff, v10, v7
	ds_store_b32 v0, v8 offset:1008
	ds_store_b32 v4, v7 offset:1512
	global_wb scope:SCOPE_SE
	s_wait_dscnt 0x0
	s_barrier_signal -1
	s_barrier_wait -1
	global_inv scope:SCOPE_SE
	s_and_saveexec_b32 s0, vcc_lo
	s_cbranch_execz .LBB0_30
; %bb.28:
	v_mul_lo_u32 v0, s3, v5
	v_mul_lo_u32 v4, s2, v6
	v_mad_co_u64_u32 v[5:6], null, s2, v5, 0
	v_lshl_add_u32 v31, v3, 2, 0
	v_add_nc_u32_e32 v7, 63, v3
	v_add_nc_u32_e32 v15, 0xbd, v3
	;; [unrolled: 1-line block ×5, first 2 shown]
	v_add3_u32 v6, v6, v4, v0
	v_mov_b32_e32 v4, 0
	v_lshlrev_b64_e32 v[0:1], 2, v[1:2]
	v_add_nc_u32_e32 v9, 0x7e, v3
	v_add_nc_u32_e32 v27, 0x1b9, v3
	v_lshlrev_b64_e32 v[5:6], 2, v[5:6]
	v_mov_b32_e32 v8, v4
	v_lshlrev_b64_e32 v[13:14], 2, v[3:4]
	v_mov_b32_e32 v10, v4
	v_mov_b32_e32 v16, v4
	v_mov_b32_e32 v18, v4
	v_add_co_u32 v2, vcc_lo, s6, v5
	s_wait_alu 0xfffd
	v_add_co_ci_u32_e32 v5, vcc_lo, s7, v6, vcc_lo
	v_lshlrev_b64_e32 v[9:10], 2, v[9:10]
	s_delay_alu instid0(VALU_DEP_3) | instskip(SKIP_1) | instid1(VALU_DEP_3)
	v_add_co_u32 v0, vcc_lo, v2, v0
	s_wait_alu 0xfffd
	v_add_co_ci_u32_e32 v1, vcc_lo, v5, v1, vcc_lo
	v_lshlrev_b64_e32 v[5:6], 2, v[7:8]
	s_delay_alu instid0(VALU_DEP_3) | instskip(SKIP_1) | instid1(VALU_DEP_3)
	v_add_co_u32 v7, vcc_lo, v0, v13
	s_wait_alu 0xfffd
	v_add_co_ci_u32_e32 v8, vcc_lo, v1, v14, vcc_lo
	v_lshlrev_b64_e32 v[15:16], 2, v[15:16]
	s_delay_alu instid0(VALU_DEP_4)
	v_add_co_u32 v5, vcc_lo, v0, v5
	v_mov_b32_e32 v20, v4
	s_wait_alu 0xfffd
	v_add_co_ci_u32_e32 v6, vcc_lo, v1, v6, vcc_lo
	v_add_co_u32 v9, vcc_lo, v0, v9
	v_lshlrev_b64_e32 v[17:18], 2, v[17:18]
	v_mov_b32_e32 v24, v4
	s_wait_alu 0xfffd
	v_add_co_ci_u32_e32 v10, vcc_lo, v1, v10, vcc_lo
	v_add_nc_u32_e32 v2, 0x200, v31
	v_add_co_u32 v15, vcc_lo, v0, v15
	v_lshlrev_b64_e32 v[19:20], 2, v[19:20]
	v_dual_mov_b32 v28, v4 :: v_dual_add_nc_u32 v29, 0x1f8, v3
	s_wait_alu 0xfffd
	v_add_co_ci_u32_e32 v16, vcc_lo, v1, v16, vcc_lo
	v_add_co_u32 v17, vcc_lo, v0, v17
	v_lshlrev_b64_e32 v[23:24], 2, v[23:24]
	ds_load_2addr_b32 v[21:22], v2 offset0:124 offset1:187
	v_add_nc_u32_e32 v2, 0x400, v31
	v_dual_mov_b32 v30, v4 :: v_dual_add_nc_u32 v33, 0x237, v3
	s_wait_alu 0xfffd
	v_add_co_ci_u32_e32 v18, vcc_lo, v1, v18, vcc_lo
	ds_load_2addr_b32 v[11:12], v31 offset1:63
	v_add_co_u32 v19, vcc_lo, v0, v19
	v_lshlrev_b64_e32 v[27:28], 2, v[27:28]
	v_mov_b32_e32 v34, v4
	ds_load_2addr_b32 v[13:14], v31 offset0:126 offset1:189
	s_wait_alu 0xfffd
	v_add_co_ci_u32_e32 v20, vcc_lo, v1, v20, vcc_lo
	ds_load_2addr_b32 v[25:26], v2 offset0:122 offset1:185
	v_add_nc_u32_e32 v2, 0x600, v31
	v_add_co_u32 v23, vcc_lo, v0, v23
	v_lshlrev_b64_e32 v[29:30], 2, v[29:30]
	s_wait_alu 0xfffd
	v_add_co_ci_u32_e32 v24, vcc_lo, v1, v24, vcc_lo
	v_add_co_u32 v27, vcc_lo, v0, v27
	v_lshlrev_b64_e32 v[33:34], 2, v[33:34]
	ds_load_2addr_b32 v[31:32], v2 offset0:120 offset1:183
	s_wait_alu 0xfffd
	v_add_co_ci_u32_e32 v28, vcc_lo, v1, v28, vcc_lo
	v_add_co_u32 v29, vcc_lo, v0, v29
	s_wait_alu 0xfffd
	v_add_co_ci_u32_e32 v30, vcc_lo, v1, v30, vcc_lo
	v_add_co_u32 v33, vcc_lo, v0, v33
	s_wait_alu 0xfffd
	v_add_co_ci_u32_e32 v34, vcc_lo, v1, v34, vcc_lo
	v_cmp_eq_u32_e32 vcc_lo, 62, v3
	s_wait_dscnt 0x3
	s_clause 0x1
	global_store_b32 v[7:8], v11, off
	global_store_b32 v[5:6], v12, off
	s_wait_dscnt 0x2
	s_clause 0x3
	global_store_b32 v[9:10], v13, off
	global_store_b32 v[15:16], v14, off
	;; [unrolled: 1-line block ×4, first 2 shown]
	s_wait_dscnt 0x1
	s_clause 0x1
	global_store_b32 v[23:24], v25, off
	global_store_b32 v[27:28], v26, off
	s_wait_dscnt 0x0
	s_clause 0x1
	global_store_b32 v[29:30], v31, off
	global_store_b32 v[33:34], v32, off
	s_and_b32 exec_lo, exec_lo, vcc_lo
	s_cbranch_execz .LBB0_30
; %bb.29:
	ds_load_b32 v2, v4 offset:2520
	s_wait_dscnt 0x0
	global_store_b32 v[0:1], v2, off offset:2520
.LBB0_30:
	s_nop 0
	s_sendmsg sendmsg(MSG_DEALLOC_VGPRS)
	s_endpgm
	.section	.rodata,"a",@progbits
	.p2align	6, 0x0
	.amdhsa_kernel fft_rtc_back_len630_factors_3_3_5_7_2_wgs_63_tpt_63_halfLds_half_op_CI_CI_unitstride_sbrr_R2C_dirReg
		.amdhsa_group_segment_fixed_size 0
		.amdhsa_private_segment_fixed_size 0
		.amdhsa_kernarg_size 104
		.amdhsa_user_sgpr_count 2
		.amdhsa_user_sgpr_dispatch_ptr 0
		.amdhsa_user_sgpr_queue_ptr 0
		.amdhsa_user_sgpr_kernarg_segment_ptr 1
		.amdhsa_user_sgpr_dispatch_id 0
		.amdhsa_user_sgpr_private_segment_size 0
		.amdhsa_wavefront_size32 1
		.amdhsa_uses_dynamic_stack 0
		.amdhsa_enable_private_segment 0
		.amdhsa_system_sgpr_workgroup_id_x 1
		.amdhsa_system_sgpr_workgroup_id_y 0
		.amdhsa_system_sgpr_workgroup_id_z 0
		.amdhsa_system_sgpr_workgroup_info 0
		.amdhsa_system_vgpr_workitem_id 0
		.amdhsa_next_free_vgpr 74
		.amdhsa_next_free_sgpr 39
		.amdhsa_reserve_vcc 1
		.amdhsa_float_round_mode_32 0
		.amdhsa_float_round_mode_16_64 0
		.amdhsa_float_denorm_mode_32 3
		.amdhsa_float_denorm_mode_16_64 3
		.amdhsa_fp16_overflow 0
		.amdhsa_workgroup_processor_mode 1
		.amdhsa_memory_ordered 1
		.amdhsa_forward_progress 0
		.amdhsa_round_robin_scheduling 0
		.amdhsa_exception_fp_ieee_invalid_op 0
		.amdhsa_exception_fp_denorm_src 0
		.amdhsa_exception_fp_ieee_div_zero 0
		.amdhsa_exception_fp_ieee_overflow 0
		.amdhsa_exception_fp_ieee_underflow 0
		.amdhsa_exception_fp_ieee_inexact 0
		.amdhsa_exception_int_div_zero 0
	.end_amdhsa_kernel
	.text
.Lfunc_end0:
	.size	fft_rtc_back_len630_factors_3_3_5_7_2_wgs_63_tpt_63_halfLds_half_op_CI_CI_unitstride_sbrr_R2C_dirReg, .Lfunc_end0-fft_rtc_back_len630_factors_3_3_5_7_2_wgs_63_tpt_63_halfLds_half_op_CI_CI_unitstride_sbrr_R2C_dirReg
                                        ; -- End function
	.section	.AMDGPU.csdata,"",@progbits
; Kernel info:
; codeLenInByte = 9664
; NumSgprs: 41
; NumVgprs: 74
; ScratchSize: 0
; MemoryBound: 0
; FloatMode: 240
; IeeeMode: 1
; LDSByteSize: 0 bytes/workgroup (compile time only)
; SGPRBlocks: 5
; VGPRBlocks: 9
; NumSGPRsForWavesPerEU: 41
; NumVGPRsForWavesPerEU: 74
; Occupancy: 16
; WaveLimiterHint : 1
; COMPUTE_PGM_RSRC2:SCRATCH_EN: 0
; COMPUTE_PGM_RSRC2:USER_SGPR: 2
; COMPUTE_PGM_RSRC2:TRAP_HANDLER: 0
; COMPUTE_PGM_RSRC2:TGID_X_EN: 1
; COMPUTE_PGM_RSRC2:TGID_Y_EN: 0
; COMPUTE_PGM_RSRC2:TGID_Z_EN: 0
; COMPUTE_PGM_RSRC2:TIDIG_COMP_CNT: 0
	.text
	.p2alignl 7, 3214868480
	.fill 96, 4, 3214868480
	.type	__hip_cuid_7be4fbff474b25af,@object ; @__hip_cuid_7be4fbff474b25af
	.section	.bss,"aw",@nobits
	.globl	__hip_cuid_7be4fbff474b25af
__hip_cuid_7be4fbff474b25af:
	.byte	0                               ; 0x0
	.size	__hip_cuid_7be4fbff474b25af, 1

	.ident	"AMD clang version 19.0.0git (https://github.com/RadeonOpenCompute/llvm-project roc-6.4.0 25133 c7fe45cf4b819c5991fe208aaa96edf142730f1d)"
	.section	".note.GNU-stack","",@progbits
	.addrsig
	.addrsig_sym __hip_cuid_7be4fbff474b25af
	.amdgpu_metadata
---
amdhsa.kernels:
  - .args:
      - .actual_access:  read_only
        .address_space:  global
        .offset:         0
        .size:           8
        .value_kind:     global_buffer
      - .offset:         8
        .size:           8
        .value_kind:     by_value
      - .actual_access:  read_only
        .address_space:  global
        .offset:         16
        .size:           8
        .value_kind:     global_buffer
      - .actual_access:  read_only
        .address_space:  global
        .offset:         24
        .size:           8
        .value_kind:     global_buffer
      - .actual_access:  read_only
        .address_space:  global
        .offset:         32
        .size:           8
        .value_kind:     global_buffer
      - .offset:         40
        .size:           8
        .value_kind:     by_value
      - .actual_access:  read_only
        .address_space:  global
        .offset:         48
        .size:           8
        .value_kind:     global_buffer
      - .actual_access:  read_only
        .address_space:  global
        .offset:         56
        .size:           8
        .value_kind:     global_buffer
      - .offset:         64
        .size:           4
        .value_kind:     by_value
      - .actual_access:  read_only
        .address_space:  global
        .offset:         72
        .size:           8
        .value_kind:     global_buffer
      - .actual_access:  read_only
        .address_space:  global
        .offset:         80
        .size:           8
        .value_kind:     global_buffer
      - .actual_access:  read_only
        .address_space:  global
        .offset:         88
        .size:           8
        .value_kind:     global_buffer
      - .actual_access:  write_only
        .address_space:  global
        .offset:         96
        .size:           8
        .value_kind:     global_buffer
    .group_segment_fixed_size: 0
    .kernarg_segment_align: 8
    .kernarg_segment_size: 104
    .language:       OpenCL C
    .language_version:
      - 2
      - 0
    .max_flat_workgroup_size: 63
    .name:           fft_rtc_back_len630_factors_3_3_5_7_2_wgs_63_tpt_63_halfLds_half_op_CI_CI_unitstride_sbrr_R2C_dirReg
    .private_segment_fixed_size: 0
    .sgpr_count:     41
    .sgpr_spill_count: 0
    .symbol:         fft_rtc_back_len630_factors_3_3_5_7_2_wgs_63_tpt_63_halfLds_half_op_CI_CI_unitstride_sbrr_R2C_dirReg.kd
    .uniform_work_group_size: 1
    .uses_dynamic_stack: false
    .vgpr_count:     74
    .vgpr_spill_count: 0
    .wavefront_size: 32
    .workgroup_processor_mode: 1
amdhsa.target:   amdgcn-amd-amdhsa--gfx1201
amdhsa.version:
  - 1
  - 2
...

	.end_amdgpu_metadata
